;; amdgpu-corpus repo=ROCm/rocFFT kind=compiled arch=gfx1201 opt=O3
	.text
	.amdgcn_target "amdgcn-amd-amdhsa--gfx1201"
	.amdhsa_code_object_version 6
	.protected	fft_rtc_back_len1210_factors_2_5_11_11_wgs_110_tpt_110_halfLds_half_op_CI_CI_unitstride_sbrr_dirReg ; -- Begin function fft_rtc_back_len1210_factors_2_5_11_11_wgs_110_tpt_110_halfLds_half_op_CI_CI_unitstride_sbrr_dirReg
	.globl	fft_rtc_back_len1210_factors_2_5_11_11_wgs_110_tpt_110_halfLds_half_op_CI_CI_unitstride_sbrr_dirReg
	.p2align	8
	.type	fft_rtc_back_len1210_factors_2_5_11_11_wgs_110_tpt_110_halfLds_half_op_CI_CI_unitstride_sbrr_dirReg,@function
fft_rtc_back_len1210_factors_2_5_11_11_wgs_110_tpt_110_halfLds_half_op_CI_CI_unitstride_sbrr_dirReg: ; @fft_rtc_back_len1210_factors_2_5_11_11_wgs_110_tpt_110_halfLds_half_op_CI_CI_unitstride_sbrr_dirReg
; %bb.0:
	s_clause 0x2
	s_load_b128 s[8:11], s[0:1], 0x0
	s_load_b128 s[4:7], s[0:1], 0x58
	;; [unrolled: 1-line block ×3, first 2 shown]
	v_mul_u32_u24_e32 v1, 0x254, v0
	v_mov_b32_e32 v3, 0
	s_delay_alu instid0(VALU_DEP_2) | instskip(NEXT) | instid1(VALU_DEP_1)
	v_lshrrev_b32_e32 v1, 16, v1
	v_add_nc_u32_e32 v5, ttmp9, v1
	v_mov_b32_e32 v1, 0
	v_mov_b32_e32 v2, 0
	;; [unrolled: 1-line block ×3, first 2 shown]
	s_wait_kmcnt 0x0
	v_cmp_lt_u64_e64 s2, s[10:11], 2
	s_delay_alu instid0(VALU_DEP_1)
	s_and_b32 vcc_lo, exec_lo, s2
	s_cbranch_vccnz .LBB0_8
; %bb.1:
	s_load_b64 s[2:3], s[0:1], 0x10
	v_mov_b32_e32 v1, 0
	v_mov_b32_e32 v2, 0
	s_add_nc_u64 s[16:17], s[14:15], 8
	s_add_nc_u64 s[18:19], s[12:13], 8
	s_mov_b64 s[20:21], 1
	s_delay_alu instid0(VALU_DEP_1)
	v_dual_mov_b32 v9, v2 :: v_dual_mov_b32 v8, v1
	s_wait_kmcnt 0x0
	s_add_nc_u64 s[22:23], s[2:3], 8
	s_mov_b32 s3, 0
.LBB0_2:                                ; =>This Inner Loop Header: Depth=1
	s_load_b64 s[24:25], s[22:23], 0x0
                                        ; implicit-def: $vgpr11_vgpr12
	s_mov_b32 s2, exec_lo
	s_wait_kmcnt 0x0
	v_or_b32_e32 v4, s25, v6
	s_delay_alu instid0(VALU_DEP_1)
	v_cmpx_ne_u64_e32 0, v[3:4]
	s_wait_alu 0xfffe
	s_xor_b32 s26, exec_lo, s2
	s_cbranch_execz .LBB0_4
; %bb.3:                                ;   in Loop: Header=BB0_2 Depth=1
	s_cvt_f32_u32 s2, s24
	s_cvt_f32_u32 s27, s25
	s_sub_nc_u64 s[30:31], 0, s[24:25]
	s_wait_alu 0xfffe
	s_delay_alu instid0(SALU_CYCLE_1) | instskip(SKIP_1) | instid1(SALU_CYCLE_2)
	s_fmamk_f32 s2, s27, 0x4f800000, s2
	s_wait_alu 0xfffe
	v_s_rcp_f32 s2, s2
	s_delay_alu instid0(TRANS32_DEP_1) | instskip(SKIP_1) | instid1(SALU_CYCLE_2)
	s_mul_f32 s2, s2, 0x5f7ffffc
	s_wait_alu 0xfffe
	s_mul_f32 s27, s2, 0x2f800000
	s_wait_alu 0xfffe
	s_delay_alu instid0(SALU_CYCLE_2) | instskip(SKIP_1) | instid1(SALU_CYCLE_2)
	s_trunc_f32 s27, s27
	s_wait_alu 0xfffe
	s_fmamk_f32 s2, s27, 0xcf800000, s2
	s_cvt_u32_f32 s29, s27
	s_wait_alu 0xfffe
	s_delay_alu instid0(SALU_CYCLE_1) | instskip(SKIP_1) | instid1(SALU_CYCLE_2)
	s_cvt_u32_f32 s28, s2
	s_wait_alu 0xfffe
	s_mul_u64 s[34:35], s[30:31], s[28:29]
	s_wait_alu 0xfffe
	s_mul_hi_u32 s37, s28, s35
	s_mul_i32 s36, s28, s35
	s_mul_hi_u32 s2, s28, s34
	s_mul_i32 s33, s29, s34
	s_wait_alu 0xfffe
	s_add_nc_u64 s[36:37], s[2:3], s[36:37]
	s_mul_hi_u32 s27, s29, s34
	s_mul_hi_u32 s38, s29, s35
	s_add_co_u32 s2, s36, s33
	s_wait_alu 0xfffe
	s_add_co_ci_u32 s2, s37, s27
	s_mul_i32 s34, s29, s35
	s_add_co_ci_u32 s35, s38, 0
	s_wait_alu 0xfffe
	s_add_nc_u64 s[34:35], s[2:3], s[34:35]
	s_wait_alu 0xfffe
	v_add_co_u32 v4, s2, s28, s34
	s_delay_alu instid0(VALU_DEP_1) | instskip(SKIP_1) | instid1(VALU_DEP_1)
	s_cmp_lg_u32 s2, 0
	s_add_co_ci_u32 s29, s29, s35
	v_readfirstlane_b32 s28, v4
	s_wait_alu 0xfffe
	s_delay_alu instid0(VALU_DEP_1)
	s_mul_u64 s[30:31], s[30:31], s[28:29]
	s_wait_alu 0xfffe
	s_mul_hi_u32 s35, s28, s31
	s_mul_i32 s34, s28, s31
	s_mul_hi_u32 s2, s28, s30
	s_mul_i32 s33, s29, s30
	s_wait_alu 0xfffe
	s_add_nc_u64 s[34:35], s[2:3], s[34:35]
	s_mul_hi_u32 s27, s29, s30
	s_mul_hi_u32 s28, s29, s31
	s_wait_alu 0xfffe
	s_add_co_u32 s2, s34, s33
	s_add_co_ci_u32 s2, s35, s27
	s_mul_i32 s30, s29, s31
	s_add_co_ci_u32 s31, s28, 0
	s_wait_alu 0xfffe
	s_add_nc_u64 s[30:31], s[2:3], s[30:31]
	s_wait_alu 0xfffe
	v_add_co_u32 v4, s2, v4, s30
	s_delay_alu instid0(VALU_DEP_1) | instskip(SKIP_1) | instid1(VALU_DEP_1)
	s_cmp_lg_u32 s2, 0
	s_add_co_ci_u32 s2, s29, s31
	v_mul_hi_u32 v7, v5, v4
	s_wait_alu 0xfffe
	v_mad_co_u64_u32 v[10:11], null, v5, s2, 0
	v_mad_co_u64_u32 v[12:13], null, v6, v4, 0
	;; [unrolled: 1-line block ×3, first 2 shown]
	s_delay_alu instid0(VALU_DEP_3) | instskip(SKIP_1) | instid1(VALU_DEP_4)
	v_add_co_u32 v4, vcc_lo, v7, v10
	s_wait_alu 0xfffd
	v_add_co_ci_u32_e32 v7, vcc_lo, 0, v11, vcc_lo
	s_delay_alu instid0(VALU_DEP_2) | instskip(SKIP_1) | instid1(VALU_DEP_2)
	v_add_co_u32 v4, vcc_lo, v4, v12
	s_wait_alu 0xfffd
	v_add_co_ci_u32_e32 v4, vcc_lo, v7, v13, vcc_lo
	s_wait_alu 0xfffd
	v_add_co_ci_u32_e32 v7, vcc_lo, 0, v15, vcc_lo
	s_delay_alu instid0(VALU_DEP_2) | instskip(SKIP_1) | instid1(VALU_DEP_2)
	v_add_co_u32 v4, vcc_lo, v4, v14
	s_wait_alu 0xfffd
	v_add_co_ci_u32_e32 v7, vcc_lo, 0, v7, vcc_lo
	s_delay_alu instid0(VALU_DEP_2) | instskip(SKIP_1) | instid1(VALU_DEP_3)
	v_mul_lo_u32 v12, s25, v4
	v_mad_co_u64_u32 v[10:11], null, s24, v4, 0
	v_mul_lo_u32 v13, s24, v7
	s_delay_alu instid0(VALU_DEP_2) | instskip(NEXT) | instid1(VALU_DEP_2)
	v_sub_co_u32 v10, vcc_lo, v5, v10
	v_add3_u32 v11, v11, v13, v12
	s_delay_alu instid0(VALU_DEP_1) | instskip(SKIP_1) | instid1(VALU_DEP_1)
	v_sub_nc_u32_e32 v12, v6, v11
	s_wait_alu 0xfffd
	v_subrev_co_ci_u32_e64 v12, s2, s25, v12, vcc_lo
	v_add_co_u32 v13, s2, v4, 2
	s_wait_alu 0xf1ff
	v_add_co_ci_u32_e64 v14, s2, 0, v7, s2
	v_sub_co_u32 v15, s2, v10, s24
	v_sub_co_ci_u32_e32 v11, vcc_lo, v6, v11, vcc_lo
	s_wait_alu 0xf1ff
	v_subrev_co_ci_u32_e64 v12, s2, 0, v12, s2
	s_delay_alu instid0(VALU_DEP_3) | instskip(NEXT) | instid1(VALU_DEP_3)
	v_cmp_le_u32_e32 vcc_lo, s24, v15
	v_cmp_eq_u32_e64 s2, s25, v11
	s_wait_alu 0xfffd
	v_cndmask_b32_e64 v15, 0, -1, vcc_lo
	v_cmp_le_u32_e32 vcc_lo, s25, v12
	s_wait_alu 0xfffd
	v_cndmask_b32_e64 v16, 0, -1, vcc_lo
	v_cmp_le_u32_e32 vcc_lo, s24, v10
	;; [unrolled: 3-line block ×3, first 2 shown]
	s_wait_alu 0xfffd
	v_cndmask_b32_e64 v17, 0, -1, vcc_lo
	v_cmp_eq_u32_e32 vcc_lo, s25, v12
	s_wait_alu 0xf1ff
	s_delay_alu instid0(VALU_DEP_2)
	v_cndmask_b32_e64 v10, v17, v10, s2
	s_wait_alu 0xfffd
	v_cndmask_b32_e32 v12, v16, v15, vcc_lo
	v_add_co_u32 v15, vcc_lo, v4, 1
	s_wait_alu 0xfffd
	v_add_co_ci_u32_e32 v16, vcc_lo, 0, v7, vcc_lo
	s_delay_alu instid0(VALU_DEP_3) | instskip(SKIP_2) | instid1(VALU_DEP_3)
	v_cmp_ne_u32_e32 vcc_lo, 0, v12
	s_wait_alu 0xfffd
	v_cndmask_b32_e32 v13, v15, v13, vcc_lo
	v_cndmask_b32_e32 v11, v16, v14, vcc_lo
	v_cmp_ne_u32_e32 vcc_lo, 0, v10
	s_wait_alu 0xfffd
	s_delay_alu instid0(VALU_DEP_2)
	v_dual_cndmask_b32 v12, v7, v11 :: v_dual_cndmask_b32 v11, v4, v13
.LBB0_4:                                ;   in Loop: Header=BB0_2 Depth=1
	s_wait_alu 0xfffe
	s_and_not1_saveexec_b32 s2, s26
	s_cbranch_execz .LBB0_6
; %bb.5:                                ;   in Loop: Header=BB0_2 Depth=1
	v_cvt_f32_u32_e32 v4, s24
	s_sub_co_i32 s26, 0, s24
	v_mov_b32_e32 v12, v3
	s_delay_alu instid0(VALU_DEP_2) | instskip(NEXT) | instid1(TRANS32_DEP_1)
	v_rcp_iflag_f32_e32 v4, v4
	v_mul_f32_e32 v4, 0x4f7ffffe, v4
	s_delay_alu instid0(VALU_DEP_1) | instskip(SKIP_1) | instid1(VALU_DEP_1)
	v_cvt_u32_f32_e32 v4, v4
	s_wait_alu 0xfffe
	v_mul_lo_u32 v7, s26, v4
	s_delay_alu instid0(VALU_DEP_1) | instskip(NEXT) | instid1(VALU_DEP_1)
	v_mul_hi_u32 v7, v4, v7
	v_add_nc_u32_e32 v4, v4, v7
	s_delay_alu instid0(VALU_DEP_1) | instskip(NEXT) | instid1(VALU_DEP_1)
	v_mul_hi_u32 v4, v5, v4
	v_mul_lo_u32 v7, v4, s24
	v_add_nc_u32_e32 v10, 1, v4
	s_delay_alu instid0(VALU_DEP_2) | instskip(NEXT) | instid1(VALU_DEP_1)
	v_sub_nc_u32_e32 v7, v5, v7
	v_subrev_nc_u32_e32 v11, s24, v7
	v_cmp_le_u32_e32 vcc_lo, s24, v7
	s_wait_alu 0xfffd
	s_delay_alu instid0(VALU_DEP_2) | instskip(NEXT) | instid1(VALU_DEP_1)
	v_dual_cndmask_b32 v7, v7, v11 :: v_dual_cndmask_b32 v4, v4, v10
	v_cmp_le_u32_e32 vcc_lo, s24, v7
	s_delay_alu instid0(VALU_DEP_2) | instskip(SKIP_1) | instid1(VALU_DEP_1)
	v_add_nc_u32_e32 v10, 1, v4
	s_wait_alu 0xfffd
	v_cndmask_b32_e32 v11, v4, v10, vcc_lo
.LBB0_6:                                ;   in Loop: Header=BB0_2 Depth=1
	s_wait_alu 0xfffe
	s_or_b32 exec_lo, exec_lo, s2
	v_mul_lo_u32 v4, v12, s24
	s_delay_alu instid0(VALU_DEP_2)
	v_mul_lo_u32 v7, v11, s25
	s_load_b64 s[26:27], s[18:19], 0x0
	v_mad_co_u64_u32 v[13:14], null, v11, s24, 0
	s_load_b64 s[24:25], s[16:17], 0x0
	s_add_nc_u64 s[20:21], s[20:21], 1
	s_add_nc_u64 s[16:17], s[16:17], 8
	s_wait_alu 0xfffe
	v_cmp_ge_u64_e64 s2, s[20:21], s[10:11]
	s_add_nc_u64 s[18:19], s[18:19], 8
	s_add_nc_u64 s[22:23], s[22:23], 8
	v_add3_u32 v4, v14, v7, v4
	v_sub_co_u32 v5, vcc_lo, v5, v13
	s_wait_alu 0xfffd
	s_delay_alu instid0(VALU_DEP_2) | instskip(SKIP_2) | instid1(VALU_DEP_1)
	v_sub_co_ci_u32_e32 v4, vcc_lo, v6, v4, vcc_lo
	s_and_b32 vcc_lo, exec_lo, s2
	s_wait_kmcnt 0x0
	v_mul_lo_u32 v6, s26, v4
	v_mul_lo_u32 v7, s27, v5
	v_mad_co_u64_u32 v[1:2], null, s26, v5, v[1:2]
	v_mul_lo_u32 v4, s24, v4
	v_mul_lo_u32 v10, s25, v5
	v_mad_co_u64_u32 v[8:9], null, s24, v5, v[8:9]
	s_delay_alu instid0(VALU_DEP_4) | instskip(NEXT) | instid1(VALU_DEP_2)
	v_add3_u32 v2, v7, v2, v6
	v_add3_u32 v9, v10, v9, v4
	s_wait_alu 0xfffe
	s_cbranch_vccnz .LBB0_9
; %bb.7:                                ;   in Loop: Header=BB0_2 Depth=1
	v_dual_mov_b32 v5, v11 :: v_dual_mov_b32 v6, v12
	s_branch .LBB0_2
.LBB0_8:
	v_dual_mov_b32 v9, v2 :: v_dual_mov_b32 v8, v1
	v_dual_mov_b32 v12, v6 :: v_dual_mov_b32 v11, v5
.LBB0_9:
	s_load_b64 s[0:1], s[0:1], 0x28
	v_mul_hi_u32 v22, 0x253c826, v0
	s_lshl_b64 s[10:11], s[10:11], 3
                                        ; implicit-def: $vgpr16
	s_wait_alu 0xfffe
	s_add_nc_u64 s[2:3], s[14:15], s[10:11]
                                        ; implicit-def: $sgpr14
                                        ; implicit-def: $sgpr15
	s_wait_kmcnt 0x0
	v_cmp_gt_u64_e32 vcc_lo, s[0:1], v[11:12]
	v_cmp_le_u64_e64 s0, s[0:1], v[11:12]
	s_delay_alu instid0(VALU_DEP_1)
	s_and_saveexec_b32 s1, s0
	s_wait_alu 0xfffe
	s_xor_b32 s0, exec_lo, s1
; %bb.10:
	v_mul_u32_u24_e32 v1, 0x6e, v22
	s_mov_b32 s15, 0
	s_mov_b32 s14, 0
                                        ; implicit-def: $vgpr22
	s_delay_alu instid0(VALU_DEP_1)
	v_sub_nc_u32_e32 v16, v0, v1
                                        ; implicit-def: $vgpr0
                                        ; implicit-def: $vgpr1_vgpr2
; %bb.11:
	s_wait_alu 0xfffe
	s_or_saveexec_b32 s1, s0
	s_load_b64 s[2:3], s[2:3], 0x0
	v_dual_mov_b32 v3, s15 :: v_dual_mov_b32 v10, s14
	v_mov_b32_e32 v4, s15
                                        ; implicit-def: $vgpr29
                                        ; implicit-def: $vgpr5
                                        ; implicit-def: $vgpr32
                                        ; implicit-def: $vgpr17
                                        ; implicit-def: $vgpr30
                                        ; implicit-def: $vgpr6
                                        ; implicit-def: $vgpr33
                                        ; implicit-def: $vgpr7
                                        ; implicit-def: $vgpr31
                                        ; implicit-def: $vgpr13
                                        ; implicit-def: $vgpr35
                                        ; implicit-def: $vgpr15
                                        ; implicit-def: $vgpr34
                                        ; implicit-def: $vgpr14
                                        ; implicit-def: $vgpr37
                                        ; implicit-def: $vgpr19
                                        ; implicit-def: $vgpr36
                                        ; implicit-def: $vgpr18
                                        ; implicit-def: $vgpr38
                                        ; implicit-def: $vgpr20
                                        ; implicit-def: $vgpr28
                                        ; implicit-def: $vgpr21
	s_xor_b32 exec_lo, exec_lo, s1
	s_cbranch_execz .LBB0_15
; %bb.12:
	s_add_nc_u64 s[10:11], s[12:13], s[10:11]
	v_lshlrev_b64_e32 v[1:2], 2, v[1:2]
	s_load_b64 s[10:11], s[10:11], 0x0
                                        ; implicit-def: $vgpr21
                                        ; implicit-def: $vgpr28
	s_wait_kmcnt 0x0
	v_mul_lo_u32 v5, s11, v11
	v_mul_lo_u32 v6, s10, v12
	v_mad_co_u64_u32 v[3:4], null, s10, v11, 0
	s_delay_alu instid0(VALU_DEP_1) | instskip(SKIP_1) | instid1(VALU_DEP_2)
	v_add3_u32 v4, v4, v6, v5
	v_mul_u32_u24_e32 v5, 0x6e, v22
	v_lshlrev_b64_e32 v[3:4], 2, v[3:4]
	s_delay_alu instid0(VALU_DEP_2) | instskip(NEXT) | instid1(VALU_DEP_2)
	v_sub_nc_u32_e32 v16, v0, v5
	v_add_co_u32 v0, s0, s4, v3
	s_wait_alu 0xf1ff
	s_delay_alu instid0(VALU_DEP_3) | instskip(NEXT) | instid1(VALU_DEP_3)
	v_add_co_ci_u32_e64 v3, s0, s5, v4, s0
	v_lshlrev_b32_e32 v4, 2, v16
	s_delay_alu instid0(VALU_DEP_3) | instskip(SKIP_1) | instid1(VALU_DEP_3)
	v_add_co_u32 v0, s0, v0, v1
	s_wait_alu 0xf1ff
	v_add_co_ci_u32_e64 v1, s0, v3, v2, s0
	v_mov_b32_e32 v3, 0
	s_delay_alu instid0(VALU_DEP_3) | instskip(SKIP_1) | instid1(VALU_DEP_3)
	v_add_co_u32 v0, s0, v0, v4
	s_wait_alu 0xf1ff
	v_add_co_ci_u32_e64 v1, s0, 0, v1, s0
	v_mov_b32_e32 v4, 0
	s_clause 0x9
	global_load_b32 v7, v[0:1], off offset:2860
	global_load_b32 v15, v[0:1], off offset:3300
	global_load_b32 v5, v[0:1], off
	global_load_b32 v6, v[0:1], off offset:440
	global_load_b32 v13, v[0:1], off offset:880
	;; [unrolled: 1-line block ×7, first 2 shown]
	s_mov_b32 s4, exec_lo
	v_cmpx_gt_u32_e32 55, v16
	s_cbranch_execz .LBB0_14
; %bb.13:
	s_clause 0x1
	global_load_b32 v4, v[0:1], off offset:2200
	global_load_b32 v21, v[0:1], off offset:4620
	s_wait_loadcnt 0x1
	v_lshrrev_b32_e32 v3, 16, v4
	s_wait_loadcnt 0x0
	v_lshrrev_b32_e32 v28, 16, v21
.LBB0_14:
	s_wait_alu 0xfffe
	s_or_b32 exec_lo, exec_lo, s4
	s_wait_loadcnt 0x7
	v_lshrrev_b32_e32 v29, 16, v5
	s_wait_loadcnt 0x3
	v_lshrrev_b32_e32 v32, 16, v17
	v_lshrrev_b32_e32 v30, 16, v6
	;; [unrolled: 1-line block ×6, first 2 shown]
	s_wait_loadcnt 0x1
	v_lshrrev_b32_e32 v37, 16, v19
	v_lshrrev_b32_e32 v36, 16, v18
	s_wait_loadcnt 0x0
	v_lshrrev_b32_e32 v38, 16, v20
	v_mov_b32_e32 v10, v16
.LBB0_15:
	s_or_b32 exec_lo, exec_lo, s1
	v_sub_f16_e32 v15, v13, v15
	v_sub_f16_e32 v2, v5, v17
	;; [unrolled: 1-line block ×5, first 2 shown]
	v_fma_f16 v21, v13, 2.0, -v15
	v_sub_f16_e32 v20, v18, v20
	v_fma_f16 v5, v5, 2.0, -v2
	v_add_nc_u32_e32 v17, 0x6e, v16
	v_add_nc_u32_e32 v13, 0xdc, v16
	v_pack_b32_f16 v15, v21, v15
	v_add_nc_u32_e32 v21, 0x226, v16
	v_fma_f16 v6, v6, 2.0, -v22
	v_fma_f16 v14, v14, 2.0, -v19
	;; [unrolled: 1-line block ×3, first 2 shown]
	v_lshl_add_u32 v1, v16, 2, 0
	v_fma_f16 v4, v4, 2.0, -v7
	v_lshlrev_b32_e32 v0, 1, v16
	v_pack_b32_f16 v5, v5, v2
	v_lshl_add_u32 v2, v17, 2, 0
	v_lshl_add_u32 v39, v13, 2, 0
	v_cmp_gt_u32_e64 s1, 55, v16
	v_lshl_add_u32 v40, v21, 2, 0
	v_pack_b32_f16 v6, v6, v22
	v_pack_b32_f16 v14, v14, v19
	;; [unrolled: 1-line block ×3, first 2 shown]
	v_add_nc_u32_e32 v19, 0x400, v1
	ds_store_b32 v1, v5
	ds_store_b32 v2, v6
	;; [unrolled: 1-line block ×3, first 2 shown]
	ds_store_2addr_b32 v19, v14, v18 offset0:74 offset1:184
	s_and_saveexec_b32 s0, s1
	s_cbranch_execz .LBB0_17
; %bb.16:
	v_perm_b32 v5, v7, v4, 0x5040100
	ds_store_b32 v40, v5
.LBB0_17:
	s_wait_alu 0xfffe
	s_or_b32 exec_lo, exec_lo, s0
	v_sub_nc_u32_e32 v15, v1, v0
	global_wb scope:SCOPE_SE
	s_wait_dscnt 0x0
	s_wait_kmcnt 0x0
	s_barrier_signal -1
	s_barrier_wait -1
	global_inv scope:SCOPE_SE
	ds_load_u16 v5, v15
	ds_load_u16 v14, v15 offset:1672
	ds_load_u16 v21, v15 offset:1452
	;; [unrolled: 1-line block ×9, first 2 shown]
	v_sub_nc_u32_e32 v0, 0, v0
	v_add_nc_u32_e32 v41, 0x528, v1
	v_add_nc_u32_e32 v42, 0x6e0, v1
	v_cmp_gt_u32_e64 s0, 22, v16
                                        ; implicit-def: $vgpr22
                                        ; implicit-def: $vgpr25
                                        ; implicit-def: $vgpr26
	s_delay_alu instid0(VALU_DEP_4) | instskip(NEXT) | instid1(VALU_DEP_2)
	v_add_nc_u32_e32 v15, v1, v0
	s_and_saveexec_b32 s4, s0
	s_cbranch_execz .LBB0_19
; %bb.18:
	ds_load_u16 v4, v15 offset:440
	ds_load_u16 v7, v15 offset:924
	;; [unrolled: 1-line block ×5, first 2 shown]
.LBB0_19:
	s_wait_alu 0xfffe
	s_or_b32 exec_lo, exec_lo, s4
	v_sub_f16_e32 v32, v29, v32
	v_sub_f16_e32 v33, v30, v33
	;; [unrolled: 1-line block ×5, first 2 shown]
	v_fma_f16 v29, v29, 2.0, -v32
	v_sub_f16_e32 v28, v3, v28
	v_fma_f16 v30, v30, 2.0, -v33
	v_fma_f16 v31, v31, 2.0, -v35
	;; [unrolled: 1-line block ×5, first 2 shown]
	v_pack_b32_f16 v3, v29, v32
	v_pack_b32_f16 v29, v30, v33
	;; [unrolled: 1-line block ×5, first 2 shown]
	global_wb scope:SCOPE_SE
	s_wait_dscnt 0x0
	s_barrier_signal -1
	s_barrier_wait -1
	global_inv scope:SCOPE_SE
	ds_store_b32 v1, v3
	ds_store_b32 v2, v29
	;; [unrolled: 1-line block ×5, first 2 shown]
	s_and_saveexec_b32 s4, s1
	s_cbranch_execz .LBB0_21
; %bb.20:
	v_perm_b32 v1, v28, v0, 0x5040100
	ds_store_b32 v40, v1
.LBB0_21:
	s_wait_alu 0xfffe
	s_or_b32 exec_lo, exec_lo, s4
	global_wb scope:SCOPE_SE
	s_wait_dscnt 0x0
	s_barrier_signal -1
	s_barrier_wait -1
	global_inv scope:SCOPE_SE
	ds_load_u16 v2, v15
	ds_load_u16 v29, v15 offset:1672
	ds_load_u16 v42, v15 offset:1452
	;; [unrolled: 1-line block ×9, first 2 shown]
                                        ; implicit-def: $vgpr39
                                        ; implicit-def: $vgpr40
                                        ; implicit-def: $vgpr43
	s_and_saveexec_b32 s1, s0
	s_cbranch_execz .LBB0_23
; %bb.22:
	ds_load_u16 v0, v15 offset:440
	ds_load_u16 v28, v15 offset:924
	;; [unrolled: 1-line block ×5, first 2 shown]
.LBB0_23:
	s_wait_alu 0xfffe
	s_or_b32 exec_lo, exec_lo, s1
	v_and_b32_e32 v1, 1, v16
	v_lshrrev_b32_e32 v17, 1, v17
	v_lshrrev_b32_e32 v13, 1, v13
	s_delay_alu instid0(VALU_DEP_3) | instskip(NEXT) | instid1(VALU_DEP_3)
	v_lshlrev_b32_e32 v31, 4, v1
	v_mul_u32_u24_e32 v17, 10, v17
	global_load_b128 v[53:56], v31, s[8:9]
	v_lshrrev_b32_e32 v31, 1, v16
	v_or_b32_e32 v17, v17, v1
	global_wb scope:SCOPE_SE
	s_wait_loadcnt_dscnt 0x0
	s_barrier_signal -1
	s_barrier_wait -1
	v_mul_u32_u24_e32 v31, 10, v31
	global_inv scope:SCOPE_SE
	v_or_b32_e32 v31, v31, v1
	s_delay_alu instid0(VALU_DEP_1)
	v_lshl_add_u32 v32, v31, 1, 0
	v_lshl_add_u32 v31, v17, 1, 0
	v_lshrrev_b32_e32 v35, 16, v54
	v_lshrrev_b32_e32 v36, 16, v55
	;; [unrolled: 1-line block ×4, first 2 shown]
	s_delay_alu instid0(VALU_DEP_4) | instskip(NEXT) | instid1(VALU_DEP_4)
	v_mul_f16_e32 v50, v45, v35
	v_mul_f16_e32 v51, v42, v36
	s_delay_alu instid0(VALU_DEP_4) | instskip(NEXT) | instid1(VALU_DEP_4)
	v_mul_f16_e32 v49, v48, v34
	v_mul_f16_e32 v52, v46, v57
	;; [unrolled: 1-line block ×20, first 2 shown]
	v_fmac_f16_e32 v50, v23, v54
	v_fmac_f16_e32 v51, v21, v55
	;; [unrolled: 1-line block ×4, first 2 shown]
	v_mul_f16_e32 v65, v19, v57
	v_mul_f16_e32 v57, v22, v57
	v_fmac_f16_e32 v44, v20, v53
	v_fmac_f16_e32 v17, v18, v54
	;; [unrolled: 1-line block ×4, first 2 shown]
	v_fma_f16 v27, v48, v53, -v58
	v_fma_f16 v24, v46, v56, -v61
	v_fmac_f16_e32 v36, v22, v56
	v_add_f16_e32 v22, v50, v51
	v_fma_f16 v23, v45, v54, -v59
	v_fma_f16 v42, v42, v55, -v60
	;; [unrolled: 1-line block ×4, first 2 shown]
	v_add_f16_e32 v40, v49, v52
	v_fma_f16 v20, v41, v53, -v62
	v_fma_f16 v18, v30, v54, -v63
	;; [unrolled: 1-line block ×3, first 2 shown]
	v_fmac_f16_e32 v33, v7, v53
	v_fma_f16 v7, v28, v53, -v66
	v_fma_f16 v14, v43, v54, -v67
	v_fma_f16 v30, v39, v56, -v57
	v_add_f16_e32 v19, v5, v49
	v_sub_f16_e32 v28, v49, v50
	v_sub_f16_e32 v39, v52, v51
	v_sub_f16_e32 v41, v50, v49
	v_sub_f16_e32 v43, v51, v52
	v_add_f16_e32 v46, v17, v38
	v_add_f16_e32 v56, v44, v47
	v_fmac_f16_e32 v35, v25, v55
	v_sub_f16_e32 v25, v27, v24
	v_fma_f16 v22, -0.5, v22, v5
	v_fmac_f16_e32 v34, v26, v54
	v_sub_f16_e32 v26, v23, v42
	v_sub_f16_e32 v54, v44, v17
	;; [unrolled: 1-line block ×3, first 2 shown]
	v_fmac_f16_e32 v5, -0.5, v40
	v_add_f16_e32 v45, v6, v44
	v_sub_f16_e32 v48, v20, v37
	v_sub_f16_e32 v53, v18, v21
	v_add_f16_e32 v19, v19, v50
	v_add_f16_e32 v28, v28, v39
	;; [unrolled: 1-line block ×3, first 2 shown]
	v_fma_f16 v41, -0.5, v46, v6
	v_fmac_f16_e32 v6, -0.5, v56
	v_fmamk_f16 v46, v25, 0xbb9c, v22
	v_add_f16_e32 v43, v54, v55
	v_fmamk_f16 v54, v26, 0x3b9c, v5
	v_fmac_f16_e32 v5, 0xbb9c, v26
	v_fmac_f16_e32 v22, 0x3b9c, v25
	v_sub_f16_e32 v57, v17, v44
	v_sub_f16_e32 v58, v38, v47
	v_add_f16_e32 v40, v45, v17
	v_add_f16_e32 v19, v19, v51
	v_fmamk_f16 v55, v48, 0xbb9c, v41
	v_fmac_f16_e32 v41, 0x3b9c, v48
	v_fmamk_f16 v56, v53, 0x3b9c, v6
	v_fmac_f16_e32 v6, 0xbb9c, v53
	v_fmac_f16_e32 v46, 0xb8b4, v26
	;; [unrolled: 1-line block ×5, first 2 shown]
	v_add_f16_e32 v45, v57, v58
	v_add_f16_e32 v40, v40, v38
	;; [unrolled: 1-line block ×3, first 2 shown]
	v_fmac_f16_e32 v55, 0xb8b4, v53
	v_fmac_f16_e32 v41, 0x38b4, v53
	;; [unrolled: 1-line block ×8, first 2 shown]
	v_add_f16_e32 v25, v40, v47
	v_fmac_f16_e32 v55, 0x34f2, v43
	v_fmac_f16_e32 v41, 0x34f2, v43
	;; [unrolled: 1-line block ×4, first 2 shown]
	ds_store_b16 v32, v19
	ds_store_b16 v32, v46 offset:4
	ds_store_b16 v32, v54 offset:8
	;; [unrolled: 1-line block ×4, first 2 shown]
	ds_store_b16 v31, v25
	ds_store_b16 v31, v55 offset:4
	ds_store_b16 v31, v56 offset:8
	;; [unrolled: 1-line block ×4, first 2 shown]
	s_and_saveexec_b32 s1, s0
	s_cbranch_execz .LBB0_25
; %bb.24:
	v_add_f16_e32 v5, v33, v36
	v_add_f16_e32 v25, v34, v35
	v_sub_f16_e32 v6, v34, v33
	v_sub_f16_e32 v19, v35, v36
	v_add_f16_e32 v39, v4, v33
	v_fma_f16 v5, -0.5, v5, v4
	v_sub_f16_e32 v26, v7, v30
	v_fma_f16 v4, -0.5, v25, v4
	v_sub_f16_e32 v22, v14, v29
	v_sub_f16_e32 v28, v33, v34
	v_sub_f16_e32 v40, v36, v35
	v_add_f16_e32 v6, v6, v19
	v_add_f16_e32 v19, v39, v34
	v_mul_u32_u24_e32 v41, 10, v13
	v_fmamk_f16 v39, v26, 0x3b9c, v4
	v_fmac_f16_e32 v4, 0xbb9c, v26
	v_fmamk_f16 v25, v22, 0xbb9c, v5
	v_fmac_f16_e32 v5, 0x3b9c, v22
	v_add_f16_e32 v28, v28, v40
	v_add_f16_e32 v19, v19, v35
	v_or_b32_e32 v40, v41, v1
	v_fmac_f16_e32 v4, 0xb8b4, v22
	v_fmac_f16_e32 v5, 0xb8b4, v26
	;; [unrolled: 1-line block ×4, first 2 shown]
	v_add_f16_e32 v19, v19, v36
	v_lshl_add_u32 v22, v40, 1, 0
	v_fmac_f16_e32 v4, 0x34f2, v28
	v_fmac_f16_e32 v5, 0x34f2, v6
	;; [unrolled: 1-line block ×4, first 2 shown]
	ds_store_b16 v22, v19
	ds_store_b16 v22, v4 offset:4
	ds_store_b16 v22, v5 offset:8
	;; [unrolled: 1-line block ×4, first 2 shown]
.LBB0_25:
	s_wait_alu 0xfffe
	s_or_b32 exec_lo, exec_lo, s1
	v_add_f16_e32 v4, v23, v42
	v_add_f16_e32 v5, v2, v27
	v_sub_f16_e32 v6, v49, v52
	v_add_f16_e32 v26, v27, v24
	v_sub_f16_e32 v19, v50, v51
	v_fma_f16 v4, -0.5, v4, v2
	v_sub_f16_e32 v22, v27, v23
	v_sub_f16_e32 v25, v24, v42
	v_add_f16_e32 v5, v5, v23
	v_fmac_f16_e32 v2, -0.5, v26
	v_fmamk_f16 v39, v6, 0x3b9c, v4
	v_fmac_f16_e32 v4, 0xbb9c, v6
	v_add_f16_e32 v22, v22, v25
	v_add_f16_e32 v5, v5, v42
	;; [unrolled: 1-line block ×3, first 2 shown]
	v_fmac_f16_e32 v39, 0x38b4, v19
	v_fmac_f16_e32 v4, 0xb8b4, v19
	v_fmamk_f16 v40, v19, 0xbb9c, v2
	v_fmac_f16_e32 v2, 0x3b9c, v19
	v_add_f16_e32 v19, v3, v20
	v_add_f16_e32 v5, v5, v24
	v_fmac_f16_e32 v39, 0x34f2, v22
	v_fmac_f16_e32 v4, 0x34f2, v22
	v_sub_f16_e32 v22, v23, v27
	v_sub_f16_e32 v23, v42, v24
	v_fma_f16 v41, -0.5, v25, v3
	v_sub_f16_e32 v24, v44, v47
	v_fmac_f16_e32 v40, 0x38b4, v6
	v_fmac_f16_e32 v2, 0xb8b4, v6
	v_add_f16_e32 v6, v19, v18
	v_add_f16_e32 v19, v20, v37
	;; [unrolled: 1-line block ×3, first 2 shown]
	v_fmamk_f16 v42, v24, 0x3b9c, v41
	v_sub_f16_e32 v17, v17, v38
	v_fmac_f16_e32 v41, 0xbb9c, v24
	v_fmac_f16_e32 v3, -0.5, v19
	v_fmac_f16_e32 v40, 0x34f2, v22
	v_fmac_f16_e32 v2, 0x34f2, v22
	v_fmac_f16_e32 v42, 0x38b4, v17
	v_sub_f16_e32 v19, v20, v18
	v_sub_f16_e32 v22, v37, v21
	v_fmamk_f16 v38, v17, 0xbb9c, v3
	v_sub_f16_e32 v18, v18, v20
	v_sub_f16_e32 v20, v21, v37
	v_fmac_f16_e32 v3, 0x3b9c, v17
	v_fmac_f16_e32 v41, 0xb8b4, v17
	v_lshl_add_u32 v17, v16, 1, 0
	v_add_f16_e32 v6, v6, v21
	v_add_f16_e32 v43, v19, v22
	v_fmac_f16_e32 v38, 0x38b4, v24
	v_add_f16_e32 v44, v18, v20
	v_fmac_f16_e32 v3, 0xb8b4, v24
	global_wb scope:SCOPE_SE
	s_wait_dscnt 0x0
	s_barrier_signal -1
	s_barrier_wait -1
	global_inv scope:SCOPE_SE
	ds_load_u16 v26, v17 offset:440
	ds_load_u16 v25, v17 offset:660
	;; [unrolled: 1-line block ×6, first 2 shown]
	ds_load_u16 v18, v15
	ds_load_u16 v27, v17 offset:1100
	ds_load_u16 v23, v15 offset:1760
	ds_load_u16 v20, v15 offset:1980
	ds_load_u16 v21, v15 offset:2200
	v_add_f16_e32 v6, v6, v37
	v_fmac_f16_e32 v42, 0x34f2, v43
	v_fmac_f16_e32 v41, 0x34f2, v43
	;; [unrolled: 1-line block ×4, first 2 shown]
	global_wb scope:SCOPE_SE
	s_wait_dscnt 0x0
	s_barrier_signal -1
	s_barrier_wait -1
	global_inv scope:SCOPE_SE
	ds_store_b16 v32, v5
	ds_store_b16 v32, v39 offset:4
	ds_store_b16 v32, v40 offset:8
	;; [unrolled: 1-line block ×4, first 2 shown]
	ds_store_b16 v31, v6
	ds_store_b16 v31, v42 offset:4
	ds_store_b16 v31, v38 offset:8
	;; [unrolled: 1-line block ×4, first 2 shown]
	s_and_saveexec_b32 s1, s0
	s_cbranch_execz .LBB0_27
; %bb.26:
	v_add_f16_e32 v3, v14, v29
	v_add_f16_e32 v6, v7, v30
	;; [unrolled: 1-line block ×3, first 2 shown]
	v_sub_f16_e32 v4, v33, v36
	v_sub_f16_e32 v5, v34, v35
	v_fma_f16 v3, -0.5, v3, v0
	v_sub_f16_e32 v31, v7, v14
	v_sub_f16_e32 v32, v30, v29
	v_fmac_f16_e32 v0, -0.5, v6
	v_add_f16_e32 v2, v2, v14
	v_mul_u32_u24_e32 v13, 10, v13
	v_fmamk_f16 v6, v4, 0x3b9c, v3
	v_add_f16_e32 v31, v31, v32
	v_fmamk_f16 v32, v5, 0xbb9c, v0
	v_sub_f16_e32 v7, v14, v7
	v_sub_f16_e32 v14, v29, v30
	v_fmac_f16_e32 v0, 0x3b9c, v5
	v_fmac_f16_e32 v3, 0xbb9c, v4
	v_add_f16_e32 v2, v2, v29
	v_or_b32_e32 v1, v13, v1
	v_fmac_f16_e32 v6, 0x38b4, v5
	v_fmac_f16_e32 v32, 0x38b4, v4
	v_add_f16_e32 v7, v7, v14
	v_fmac_f16_e32 v0, 0xb8b4, v4
	v_fmac_f16_e32 v3, 0xb8b4, v5
	v_add_f16_e32 v2, v2, v30
	v_lshl_add_u32 v1, v1, 1, 0
	v_fmac_f16_e32 v6, 0x34f2, v31
	v_fmac_f16_e32 v32, 0x34f2, v7
	;; [unrolled: 1-line block ×4, first 2 shown]
	ds_store_b16 v1, v2
	ds_store_b16 v1, v6 offset:4
	ds_store_b16 v1, v32 offset:8
	ds_store_b16 v1, v0 offset:12
	ds_store_b16 v1, v3 offset:16
.LBB0_27:
	s_wait_alu 0xfffe
	s_or_b32 exec_lo, exec_lo, s1
	v_and_b32_e32 v0, 0xff, v16
	global_wb scope:SCOPE_SE
	s_wait_dscnt 0x0
	s_barrier_signal -1
	s_barrier_wait -1
	global_inv scope:SCOPE_SE
	v_mul_lo_u16 v0, 0xcd, v0
	s_delay_alu instid0(VALU_DEP_1) | instskip(NEXT) | instid1(VALU_DEP_1)
	v_lshrrev_b16 v29, 11, v0
	v_mul_lo_u16 v0, v29, 10
	v_and_b32_e32 v29, 0xffff, v29
	s_delay_alu instid0(VALU_DEP_2) | instskip(NEXT) | instid1(VALU_DEP_2)
	v_sub_nc_u16 v0, v16, v0
	v_mul_u32_u24_e32 v29, 0xdc, v29
	s_delay_alu instid0(VALU_DEP_2) | instskip(NEXT) | instid1(VALU_DEP_1)
	v_and_b32_e32 v30, 0xff, v0
	v_mul_u32_u24_e32 v0, 10, v30
	v_lshlrev_b32_e32 v35, 1, v30
	s_delay_alu instid0(VALU_DEP_2) | instskip(NEXT) | instid1(VALU_DEP_2)
	v_lshlrev_b32_e32 v13, 2, v0
	v_add3_u32 v29, 0, v29, v35
	s_clause 0x2
	global_load_b128 v[0:3], v13, s[8:9] offset:32
	global_load_b128 v[4:7], v13, s[8:9] offset:48
	global_load_b64 v[13:14], v13, s[8:9] offset:64
	ds_load_u16 v31, v17 offset:440
	ds_load_u16 v32, v17 offset:660
	;; [unrolled: 1-line block ×4, first 2 shown]
	ds_load_u16 v30, v15
	ds_load_u16 v36, v15 offset:220
	ds_load_u16 v37, v15 offset:1320
	ds_load_u16 v38, v15 offset:1540
	ds_load_u16 v39, v15 offset:1760
	ds_load_u16 v40, v15 offset:1980
	ds_load_u16 v41, v15 offset:2200
	global_wb scope:SCOPE_SE
	s_wait_loadcnt_dscnt 0x0
	s_barrier_signal -1
	s_barrier_wait -1
	global_inv scope:SCOPE_SE
	v_lshrrev_b32_e32 v35, 16, v0
	v_lshrrev_b32_e32 v42, 16, v1
	;; [unrolled: 1-line block ×5, first 2 shown]
	v_mul_f16_e32 v51, v36, v35
	v_mul_f16_e32 v35, v28, v35
	v_lshrrev_b32_e32 v43, 16, v2
	v_lshrrev_b32_e32 v44, 16, v3
	;; [unrolled: 1-line block ×5, first 2 shown]
	v_mul_f16_e32 v52, v31, v42
	v_mul_f16_e32 v57, v38, v47
	;; [unrolled: 1-line block ×4, first 2 shown]
	v_fmac_f16_e32 v51, v28, v0
	v_mul_f16_e32 v42, v26, v42
	v_mul_f16_e32 v59, v40, v49
	;; [unrolled: 1-line block ×3, first 2 shown]
	v_fma_f16 v0, v36, v0, -v35
	v_mul_f16_e32 v53, v32, v43
	v_mul_f16_e32 v43, v25, v43
	;; [unrolled: 1-line block ×11, first 2 shown]
	v_fmac_f16_e32 v52, v26, v1
	v_fmac_f16_e32 v57, v19, v6
	;; [unrolled: 1-line block ×3, first 2 shown]
	v_fma_f16 v14, v41, v14, -v50
	v_add_f16_e32 v19, v18, v51
	v_fma_f16 v1, v31, v1, -v42
	v_fmac_f16_e32 v59, v20, v13
	v_fma_f16 v13, v40, v13, -v49
	v_add_f16_e32 v20, v30, v0
	v_fmac_f16_e32 v53, v25, v2
	v_fma_f16 v2, v32, v2, -v43
	v_fmac_f16_e32 v54, v24, v3
	v_fma_f16 v3, v33, v3, -v44
	;; [unrolled: 2-line block ×4, first 2 shown]
	v_fma_f16 v6, v38, v6, -v47
	v_fmac_f16_e32 v58, v23, v7
	v_fma_f16 v7, v39, v7, -v48
	v_add_f16_e32 v22, v0, v14
	v_sub_f16_e32 v0, v0, v14
	v_add_f16_e32 v19, v19, v52
	v_add_f16_e32 v25, v1, v13
	v_sub_f16_e32 v27, v1, v13
	v_add_f16_e32 v1, v20, v1
	;; [unrolled: 3-line block ×3, first 2 shown]
	v_sub_f16_e32 v33, v2, v7
	v_sub_f16_e32 v35, v3, v6
	v_add_f16_e32 v36, v3, v6
	v_sub_f16_e32 v38, v4, v5
	v_add_f16_e32 v40, v4, v5
	v_mul_f16_e32 v20, 0xb853, v0
	v_mul_f16_e32 v42, 0x3abb, v22
	;; [unrolled: 1-line block ×8, first 2 shown]
	v_add_f16_e32 v19, v19, v53
	v_add_f16_e32 v1, v1, v2
	;; [unrolled: 1-line block ×3, first 2 shown]
	v_sub_f16_e32 v26, v52, v59
	v_add_f16_e32 v28, v53, v58
	v_sub_f16_e32 v32, v53, v58
	v_add_f16_e32 v34, v54, v57
	;; [unrolled: 2-line block ×3, first 2 shown]
	v_sub_f16_e32 v41, v55, v56
	v_mul_f16_e32 v48, 0xb93d, v22
	v_mul_f16_e32 v22, 0xbbad, v22
	;; [unrolled: 1-line block ×42, first 2 shown]
	v_fmamk_f16 v2, v21, 0x3abb, v20
	v_fmamk_f16 v53, v23, 0x3853, v42
	v_fma_f16 v20, v21, 0x3abb, -v20
	v_fmac_f16_e32 v42, 0xb853, v23
	v_fmamk_f16 v89, v21, 0x36a6, v43
	v_fmamk_f16 v90, v23, 0x3b47, v44
	v_fma_f16 v43, v21, 0x36a6, -v43
	v_fmac_f16_e32 v44, 0xbb47, v23
	v_fmamk_f16 v91, v21, 0xb08e, v45
	v_fmamk_f16 v92, v23, 0x3beb, v46
	v_fma_f16 v45, v21, 0xb08e, -v45
	v_fmamk_f16 v93, v21, 0xb93d, v47
	v_fma_f16 v47, v21, 0xb93d, -v47
	;; [unrolled: 2-line block ×3, first 2 shown]
	v_add_f16_e32 v19, v19, v54
	v_add_f16_e32 v1, v1, v3
	v_fmac_f16_e32 v46, 0xbbeb, v23
	v_fmamk_f16 v94, v23, 0x3a0c, v48
	v_fmac_f16_e32 v48, 0xba0c, v23
	v_fmamk_f16 v96, v23, 0x3482, v22
	;; [unrolled: 2-line block ×3, first 2 shown]
	v_fmamk_f16 v23, v26, 0x3b47, v50
	v_fma_f16 v49, v24, 0x36a6, -v49
	v_fmac_f16_e32 v50, 0xbb47, v26
	v_fmamk_f16 v97, v24, 0xb93d, v51
	v_fmamk_f16 v98, v26, 0x3a0c, v52
	v_fma_f16 v51, v24, 0xb93d, -v51
	v_fmac_f16_e32 v52, 0xba0c, v26
	v_fmamk_f16 v99, v24, 0xbbad, v61
	;; [unrolled: 4-line block ×10, first 2 shown]
	v_fma_f16 v33, v34, 0xb93d, -v73
	v_fmamk_f16 v73, v34, 0xb08e, v74
	v_fma_f16 v74, v34, 0xb08e, -v74
	v_fmamk_f16 v113, v34, 0x3abb, v75
	;; [unrolled: 2-line block ×5, first 2 shown]
	v_fmac_f16_e32 v77, 0xba0c, v37
	v_fmamk_f16 v116, v37, 0xbbeb, v78
	v_fmac_f16_e32 v78, 0x3beb, v37
	v_fmamk_f16 v117, v37, 0x3853, v79
	;; [unrolled: 2-line block ×5, first 2 shown]
	v_fma_f16 v81, v39, 0xbbad, -v81
	v_fmamk_f16 v120, v39, 0x3abb, v82
	v_fma_f16 v82, v39, 0x3abb, -v82
	v_fmamk_f16 v121, v39, 0xb93d, v83
	;; [unrolled: 2-line block ×5, first 2 shown]
	v_fmac_f16_e32 v85, 0xb482, v41
	v_fmamk_f16 v124, v41, 0xb853, v86
	v_fmac_f16_e32 v86, 0x3853, v41
	v_fmamk_f16 v125, v41, 0x3a0c, v87
	;; [unrolled: 2-line block ×4, first 2 shown]
	v_fmac_f16_e32 v40, 0xbbeb, v41
	v_add_f16_e32 v2, v18, v2
	v_add_f16_e32 v3, v18, v20
	;; [unrolled: 1-line block ×88, first 2 shown]
	ds_store_b16 v29, v7 offset:160
	ds_store_b16 v29, v5 offset:180
	;; [unrolled: 1-line block ×3, first 2 shown]
	v_add_f16_e32 v3, v19, v60
	v_add_f16_e32 v22, v36, v22
	;; [unrolled: 1-line block ×7, first 2 shown]
	ds_store_b16 v29, v4 offset:40
	ds_store_b16 v29, v6 offset:60
	;; [unrolled: 1-line block ×6, first 2 shown]
	v_add_f16_e32 v19, v1, v14
	ds_store_b16 v29, v2 offset:20
	ds_store_b16 v29, v3
	global_wb scope:SCOPE_SE
	s_wait_dscnt 0x0
	s_barrier_signal -1
	s_barrier_wait -1
	global_inv scope:SCOPE_SE
	ds_load_u16 v6, v17 offset:440
	ds_load_u16 v3, v17 offset:660
	;; [unrolled: 1-line block ×6, first 2 shown]
	ds_load_u16 v0, v15
	ds_load_u16 v4, v17 offset:1100
	ds_load_u16 v7, v15 offset:1760
	;; [unrolled: 1-line block ×4, first 2 shown]
	v_add_f16_e32 v46, v102, v91
	v_add_f16_e32 v48, v64, v48
	;; [unrolled: 1-line block ×13, first 2 shown]
	global_wb scope:SCOPE_SE
	s_wait_dscnt 0x0
	s_barrier_signal -1
	v_add_f16_e32 v24, v126, v28
	v_add_f16_e32 v26, v88, v31
	;; [unrolled: 1-line block ×3, first 2 shown]
	s_barrier_wait -1
	global_inv scope:SCOPE_SE
	ds_store_b16 v29, v19
	ds_store_b16 v29, v34 offset:20
	ds_store_b16 v29, v36 offset:40
	;; [unrolled: 1-line block ×10, first 2 shown]
	global_wb scope:SCOPE_SE
	s_wait_dscnt 0x0
	s_barrier_signal -1
	s_barrier_wait -1
	global_inv scope:SCOPE_SE
	s_and_saveexec_b32 s0, vcc_lo
	s_cbranch_execz .LBB0_29
; %bb.28:
	v_mul_u32_u24_e32 v16, 10, v16
	v_mul_lo_u32 v29, s2, v12
	v_lshlrev_b64_e32 v[8:9], 2, v[8:9]
	s_delay_alu instid0(VALU_DEP_3)
	v_lshlrev_b32_e32 v16, 2, v16
	s_clause 0x2
	global_load_b128 v[19:22], v16, s[8:9] offset:432
	global_load_b64 v[27:28], v16, s[8:9] offset:464
	global_load_b128 v[23:26], v16, s[8:9] offset:448
	v_mul_lo_u32 v16, s3, v11
	v_mad_co_u64_u32 v[11:12], null, s2, v11, 0
	s_delay_alu instid0(VALU_DEP_1)
	v_add3_u32 v12, v12, v29, v16
	ds_load_u16 v16, v15 offset:2200
	ds_load_u16 v31, v15 offset:1980
	;; [unrolled: 1-line block ×5, first 2 shown]
	v_lshlrev_b64_e32 v[29:30], 2, v[11:12]
	v_mov_b32_e32 v11, 0
	ds_load_u16 v12, v15 offset:220
	ds_load_u16 v15, v15
	v_lshlrev_b64_e32 v[10:11], 2, v[10:11]
	v_add_co_u32 v29, vcc_lo, s6, v29
	s_wait_alu 0xfffd
	v_add_co_ci_u32_e32 v30, vcc_lo, s7, v30, vcc_lo
	s_delay_alu instid0(VALU_DEP_2) | instskip(SKIP_1) | instid1(VALU_DEP_2)
	v_add_co_u32 v8, vcc_lo, v29, v8
	s_wait_alu 0xfffd
	v_add_co_ci_u32_e32 v9, vcc_lo, v30, v9, vcc_lo
	ds_load_u16 v29, v17 offset:440
	ds_load_u16 v30, v17 offset:660
	;; [unrolled: 1-line block ×4, first 2 shown]
	v_add_co_u32 v8, vcc_lo, v8, v10
	s_wait_alu 0xfffd
	v_add_co_ci_u32_e32 v9, vcc_lo, v9, v11, vcc_lo
	s_wait_loadcnt 0x2
	v_lshrrev_b32_e32 v10, 16, v19
	v_mul_f16_e32 v38, v13, v19
	s_wait_loadcnt 0x1
	v_lshrrev_b32_e32 v40, 16, v28
	v_lshrrev_b32_e32 v11, 16, v20
	;; [unrolled: 1-line block ×4, first 2 shown]
	v_mul_f16_e32 v41, v18, v28
	s_wait_loadcnt 0x0
	v_lshrrev_b32_e32 v46, 16, v24
	v_lshrrev_b32_e32 v48, 16, v26
	s_wait_dscnt 0x5
	v_fmac_f16_e32 v38, v12, v10
	v_mul_f16_e32 v18, v18, v40
	v_mul_f16_e32 v10, v13, v10
	v_lshrrev_b32_e32 v36, 16, v21
	v_mul_f16_e32 v42, v6, v20
	v_mul_f16_e32 v43, v14, v27
	;; [unrolled: 1-line block ×11, first 2 shown]
	v_fma_f16 v14, v16, v28, -v18
	v_fma_f16 v10, v12, v19, -v10
	v_lshrrev_b32_e32 v45, 16, v23
	v_lshrrev_b32_e32 v47, 16, v25
	v_fmac_f16_e32 v41, v16, v40
	s_wait_dscnt 0x3
	v_fmac_f16_e32 v42, v29, v11
	v_fmac_f16_e32 v43, v31, v39
	s_wait_dscnt 0x2
	v_fmac_f16_e32 v44, v30, v36
	v_fmac_f16_e32 v49, v32, v48
	v_mul_f16_e32 v3, v3, v36
	s_wait_dscnt 0x1
	v_fmac_f16_e32 v50, v35, v37
	v_fma_f16 v13, v31, v27, -v13
	v_fma_f16 v6, v29, v20, -v6
	;; [unrolled: 1-line block ×5, first 2 shown]
	v_add_f16_e32 v24, v0, v38
	v_add_f16_e32 v26, v10, v14
	v_sub_f16_e32 v35, v10, v14
	v_add_f16_e32 v10, v10, v15
	v_mul_f16_e32 v51, v5, v25
	v_mul_f16_e32 v52, v4, v23
	;; [unrolled: 1-line block ×4, first 2 shown]
	v_sub_f16_e32 v11, v38, v41
	v_sub_f16_e32 v12, v42, v43
	;; [unrolled: 1-line block ×3, first 2 shown]
	v_fma_f16 v3, v30, v21, -v3
	v_add_f16_e32 v28, v6, v13
	v_sub_f16_e32 v36, v6, v13
	v_add_f16_e32 v24, v24, v42
	v_add_f16_e32 v6, v10, v6
	s_wait_dscnt 0x0
	v_fmac_f16_e32 v52, v17, v45
	v_fmac_f16_e32 v53, v34, v46
	v_fma_f16 v5, v33, v25, -v5
	v_fma_f16 v4, v17, v23, -v4
	v_add_f16_e32 v17, v38, v41
	v_mul_f16_e32 v25, 0xb853, v11
	v_mul_f16_e32 v27, 0xbb47, v12
	;; [unrolled: 1-line block ×3, first 2 shown]
	v_add_f16_e32 v30, v3, v7
	v_sub_f16_e32 v37, v3, v7
	v_mul_f16_e32 v40, 0xbb47, v11
	v_mul_f16_e32 v46, 0x3482, v16
	v_mul_f16_e32 v54, 0xbbeb, v11
	v_mul_f16_e32 v56, 0x3b47, v16
	v_mul_f16_e32 v59, 0xba0c, v11
	v_mul_f16_e32 v61, 0xb853, v16
	v_mul_f16_e32 v11, 0xb482, v11
	v_mul_f16_e32 v16, 0xba0c, v16
	v_mul_f16_e32 v68, 0xb853, v35
	v_mul_f16_e32 v78, 0xbb47, v35
	v_mul_f16_e32 v88, 0xbbeb, v35
	v_mul_f16_e32 v98, 0xba0c, v35
	v_mul_f16_e32 v35, 0xb482, v35
	v_add_f16_e32 v24, v24, v44
	v_add_f16_e32 v3, v6, v3
	v_fmac_f16_e32 v51, v33, v47
	v_add_f16_e32 v20, v42, v43
	v_add_f16_e32 v21, v44, v49
	;; [unrolled: 1-line block ×3, first 2 shown]
	v_sub_f16_e32 v38, v1, v5
	v_fmamk_f16 v42, v26, 0x3abb, v25
	v_fmamk_f16 v64, v28, 0x36a6, v27
	v_fmamk_f16 v65, v30, 0xb08e, v29
	v_fmamk_f16 v73, v26, 0x36a6, v40
	v_fmamk_f16 v75, v30, 0xbbad, v46
	v_fmamk_f16 v83, v26, 0xb08e, v54
	v_fmamk_f16 v85, v30, 0x36a6, v56
	v_fmamk_f16 v93, v26, 0xb93d, v59
	v_fmamk_f16 v95, v30, 0x3abb, v61
	v_fmamk_f16 v103, v26, 0xbbad, v11
	v_fmamk_f16 v105, v30, 0xb93d, v16
	v_fma_f16 v11, v26, 0xbbad, -v11
	v_fma_f16 v16, v30, 0xb93d, -v16
	;; [unrolled: 1-line block ×16, first 2 shown]
	v_fmac_f16_e32 v35, 0xbbad, v17
	v_fmac_f16_e32 v98, 0xb93d, v17
	;; [unrolled: 1-line block ×5, first 2 shown]
	v_add_f16_e32 v17, v24, v50
	v_add_f16_e32 v1, v3, v1
	v_sub_f16_e32 v18, v50, v51
	v_sub_f16_e32 v19, v52, v53
	;; [unrolled: 1-line block ×3, first 2 shown]
	v_mul_f16_e32 v45, 0xba0c, v12
	v_mul_f16_e32 v55, 0x3482, v12
	;; [unrolled: 1-line block ×4, first 2 shown]
	v_add_f16_e32 v17, v17, v52
	v_add_f16_e32 v1, v1, v4
	v_add_f16_e32 v23, v52, v53
	v_mul_f16_e32 v31, 0xba0c, v18
	v_mul_f16_e32 v33, 0xb482, v19
	v_add_f16_e32 v34, v4, v2
	v_mul_f16_e32 v47, 0x3beb, v18
	v_mul_f16_e32 v48, 0x3853, v19
	;; [unrolled: 1-line block ×11, first 2 shown]
	v_fmamk_f16 v74, v28, 0xb93d, v45
	v_mul_f16_e32 v79, 0xba0c, v36
	v_mul_f16_e32 v80, 0x3482, v37
	;; [unrolled: 1-line block ×3, first 2 shown]
	v_fmamk_f16 v84, v28, 0xbbad, v55
	v_mul_f16_e32 v89, 0x3482, v36
	v_mul_f16_e32 v90, 0x3b47, v37
	v_mul_f16_e32 v92, 0xba0c, v39
	v_mul_f16_e32 v99, 0x3beb, v36
	v_mul_f16_e32 v100, 0xb853, v37
	v_mul_f16_e32 v102, 0x3b47, v39
	v_fmamk_f16 v104, v28, 0x3abb, v12
	v_mul_f16_e32 v36, 0x3853, v36
	v_mul_f16_e32 v37, 0xba0c, v37
	;; [unrolled: 1-line block ×3, first 2 shown]
	v_fma_f16 v12, v28, 0x3abb, -v12
	v_fma_f16 v55, v28, 0xbbad, -v55
	;; [unrolled: 1-line block ×3, first 2 shown]
	v_add_f16_e32 v10, v15, v42
	v_add_f16_e32 v42, v15, v73
	;; [unrolled: 1-line block ×6, first 2 shown]
	v_mul_f16_e32 v71, 0xba0c, v38
	v_mul_f16_e32 v81, 0x3beb, v38
	;; [unrolled: 1-line block ×3, first 2 shown]
	v_fmamk_f16 v94, v28, 0xb08e, v60
	v_mul_f16_e32 v101, 0xb482, v38
	v_mul_f16_e32 v38, 0x3b47, v38
	v_fma_f16 v60, v28, 0xb08e, -v60
	v_add_f16_e32 v83, v15, v83
	v_add_f16_e32 v93, v15, v93
	;; [unrolled: 1-line block ×6, first 2 shown]
	v_fmamk_f16 v66, v32, 0xb93d, v31
	v_fmamk_f16 v67, v34, 0xbbad, v33
	;; [unrolled: 1-line block ×10, first 2 shown]
	v_fma_f16 v18, v32, 0x36a6, -v18
	v_fma_f16 v19, v34, 0xb08e, -v19
	;; [unrolled: 1-line block ×25, first 2 shown]
	v_fmac_f16_e32 v36, 0x3abb, v20
	v_fmac_f16_e32 v37, 0xb93d, v21
	;; [unrolled: 1-line block ×12, first 2 shown]
	v_add_f16_e32 v15, v15, v25
	v_fmac_f16_e32 v69, 0x36a6, v20
	v_fmac_f16_e32 v70, 0xb08e, v21
	;; [unrolled: 1-line block ×3, first 2 shown]
	v_add_f16_e32 v6, v10, v64
	v_add_f16_e32 v10, v0, v30
	;; [unrolled: 1-line block ×15, first 2 shown]
	v_fma_f16 v33, v22, 0xb93d, -v71
	v_fma_f16 v109, v22, 0xb08e, -v81
	;; [unrolled: 1-line block ×5, first 2 shown]
	v_fmac_f16_e32 v38, 0x36a6, v22
	v_fmac_f16_e32 v101, 0xbbad, v22
	;; [unrolled: 1-line block ×5, first 2 shown]
	v_add_f16_e32 v22, v83, v84
	v_add_f16_e32 v24, v93, v94
	;; [unrolled: 1-line block ×83, first 2 shown]
	v_pack_b32_f16 v1, v17, v1
	v_pack_b32_f16 v0, v0, v15
	;; [unrolled: 1-line block ×11, first 2 shown]
	s_clause 0xa
	global_store_b32 v[8:9], v1, off
	global_store_b32 v[8:9], v0, off offset:440
	global_store_b32 v[8:9], v15, off offset:880
	global_store_b32 v[8:9], v13, off offset:1320
	global_store_b32 v[8:9], v7, off offset:1760
	global_store_b32 v[8:9], v11, off offset:2200
	global_store_b32 v[8:9], v12, off offset:2640
	global_store_b32 v[8:9], v14, off offset:3080
	global_store_b32 v[8:9], v6, off offset:3520
	global_store_b32 v[8:9], v4, off offset:3960
	global_store_b32 v[8:9], v2, off offset:4400
.LBB0_29:
	s_nop 0
	s_sendmsg sendmsg(MSG_DEALLOC_VGPRS)
	s_endpgm
	.section	.rodata,"a",@progbits
	.p2align	6, 0x0
	.amdhsa_kernel fft_rtc_back_len1210_factors_2_5_11_11_wgs_110_tpt_110_halfLds_half_op_CI_CI_unitstride_sbrr_dirReg
		.amdhsa_group_segment_fixed_size 0
		.amdhsa_private_segment_fixed_size 0
		.amdhsa_kernarg_size 104
		.amdhsa_user_sgpr_count 2
		.amdhsa_user_sgpr_dispatch_ptr 0
		.amdhsa_user_sgpr_queue_ptr 0
		.amdhsa_user_sgpr_kernarg_segment_ptr 1
		.amdhsa_user_sgpr_dispatch_id 0
		.amdhsa_user_sgpr_private_segment_size 0
		.amdhsa_wavefront_size32 1
		.amdhsa_uses_dynamic_stack 0
		.amdhsa_enable_private_segment 0
		.amdhsa_system_sgpr_workgroup_id_x 1
		.amdhsa_system_sgpr_workgroup_id_y 0
		.amdhsa_system_sgpr_workgroup_id_z 0
		.amdhsa_system_sgpr_workgroup_info 0
		.amdhsa_system_vgpr_workitem_id 0
		.amdhsa_next_free_vgpr 128
		.amdhsa_next_free_sgpr 39
		.amdhsa_reserve_vcc 1
		.amdhsa_float_round_mode_32 0
		.amdhsa_float_round_mode_16_64 0
		.amdhsa_float_denorm_mode_32 3
		.amdhsa_float_denorm_mode_16_64 3
		.amdhsa_fp16_overflow 0
		.amdhsa_workgroup_processor_mode 1
		.amdhsa_memory_ordered 1
		.amdhsa_forward_progress 0
		.amdhsa_round_robin_scheduling 0
		.amdhsa_exception_fp_ieee_invalid_op 0
		.amdhsa_exception_fp_denorm_src 0
		.amdhsa_exception_fp_ieee_div_zero 0
		.amdhsa_exception_fp_ieee_overflow 0
		.amdhsa_exception_fp_ieee_underflow 0
		.amdhsa_exception_fp_ieee_inexact 0
		.amdhsa_exception_int_div_zero 0
	.end_amdhsa_kernel
	.text
.Lfunc_end0:
	.size	fft_rtc_back_len1210_factors_2_5_11_11_wgs_110_tpt_110_halfLds_half_op_CI_CI_unitstride_sbrr_dirReg, .Lfunc_end0-fft_rtc_back_len1210_factors_2_5_11_11_wgs_110_tpt_110_halfLds_half_op_CI_CI_unitstride_sbrr_dirReg
                                        ; -- End function
	.section	.AMDGPU.csdata,"",@progbits
; Kernel info:
; codeLenInByte = 9964
; NumSgprs: 41
; NumVgprs: 128
; ScratchSize: 0
; MemoryBound: 0
; FloatMode: 240
; IeeeMode: 1
; LDSByteSize: 0 bytes/workgroup (compile time only)
; SGPRBlocks: 5
; VGPRBlocks: 15
; NumSGPRsForWavesPerEU: 41
; NumVGPRsForWavesPerEU: 128
; Occupancy: 10
; WaveLimiterHint : 1
; COMPUTE_PGM_RSRC2:SCRATCH_EN: 0
; COMPUTE_PGM_RSRC2:USER_SGPR: 2
; COMPUTE_PGM_RSRC2:TRAP_HANDLER: 0
; COMPUTE_PGM_RSRC2:TGID_X_EN: 1
; COMPUTE_PGM_RSRC2:TGID_Y_EN: 0
; COMPUTE_PGM_RSRC2:TGID_Z_EN: 0
; COMPUTE_PGM_RSRC2:TIDIG_COMP_CNT: 0
	.text
	.p2alignl 7, 3214868480
	.fill 96, 4, 3214868480
	.type	__hip_cuid_5f29f92da36a7965,@object ; @__hip_cuid_5f29f92da36a7965
	.section	.bss,"aw",@nobits
	.globl	__hip_cuid_5f29f92da36a7965
__hip_cuid_5f29f92da36a7965:
	.byte	0                               ; 0x0
	.size	__hip_cuid_5f29f92da36a7965, 1

	.ident	"AMD clang version 19.0.0git (https://github.com/RadeonOpenCompute/llvm-project roc-6.4.0 25133 c7fe45cf4b819c5991fe208aaa96edf142730f1d)"
	.section	".note.GNU-stack","",@progbits
	.addrsig
	.addrsig_sym __hip_cuid_5f29f92da36a7965
	.amdgpu_metadata
---
amdhsa.kernels:
  - .args:
      - .actual_access:  read_only
        .address_space:  global
        .offset:         0
        .size:           8
        .value_kind:     global_buffer
      - .offset:         8
        .size:           8
        .value_kind:     by_value
      - .actual_access:  read_only
        .address_space:  global
        .offset:         16
        .size:           8
        .value_kind:     global_buffer
      - .actual_access:  read_only
        .address_space:  global
        .offset:         24
        .size:           8
        .value_kind:     global_buffer
      - .actual_access:  read_only
        .address_space:  global
        .offset:         32
        .size:           8
        .value_kind:     global_buffer
      - .offset:         40
        .size:           8
        .value_kind:     by_value
      - .actual_access:  read_only
        .address_space:  global
        .offset:         48
        .size:           8
        .value_kind:     global_buffer
      - .actual_access:  read_only
        .address_space:  global
        .offset:         56
        .size:           8
        .value_kind:     global_buffer
      - .offset:         64
        .size:           4
        .value_kind:     by_value
      - .actual_access:  read_only
        .address_space:  global
        .offset:         72
        .size:           8
        .value_kind:     global_buffer
      - .actual_access:  read_only
        .address_space:  global
        .offset:         80
        .size:           8
        .value_kind:     global_buffer
      - .actual_access:  read_only
        .address_space:  global
        .offset:         88
        .size:           8
        .value_kind:     global_buffer
      - .actual_access:  write_only
        .address_space:  global
        .offset:         96
        .size:           8
        .value_kind:     global_buffer
    .group_segment_fixed_size: 0
    .kernarg_segment_align: 8
    .kernarg_segment_size: 104
    .language:       OpenCL C
    .language_version:
      - 2
      - 0
    .max_flat_workgroup_size: 110
    .name:           fft_rtc_back_len1210_factors_2_5_11_11_wgs_110_tpt_110_halfLds_half_op_CI_CI_unitstride_sbrr_dirReg
    .private_segment_fixed_size: 0
    .sgpr_count:     41
    .sgpr_spill_count: 0
    .symbol:         fft_rtc_back_len1210_factors_2_5_11_11_wgs_110_tpt_110_halfLds_half_op_CI_CI_unitstride_sbrr_dirReg.kd
    .uniform_work_group_size: 1
    .uses_dynamic_stack: false
    .vgpr_count:     128
    .vgpr_spill_count: 0
    .wavefront_size: 32
    .workgroup_processor_mode: 1
amdhsa.target:   amdgcn-amd-amdhsa--gfx1201
amdhsa.version:
  - 1
  - 2
...

	.end_amdgpu_metadata
